;; amdgpu-corpus repo=ROCm/bitsandbytes kind=harvested arch=n/a opt=n/a
	.text
	.amdgcn_target "amdgcn-amd-amdhsa--gfx1100"
	.amdhsa_code_object_version 6
	.protected	_Z19kPercentileClippingI6__halfLi2048ELi4EEvPT_Pfii ; -- Begin function _Z19kPercentileClippingI6__halfLi2048ELi4EEvPT_Pfii
	.globl	_Z19kPercentileClippingI6__halfLi2048ELi4EEvPT_Pfii
	.p2align	8
	.type	_Z19kPercentileClippingI6__halfLi2048ELi4EEvPT_Pfii,@function
_Z19kPercentileClippingI6__halfLi2048ELi4EEvPT_Pfii: ; @_Z19kPercentileClippingI6__halfLi2048ELi4EEvPT_Pfii
; %bb.0:
	s_load_b64 s[8:9], s[0:1], 0x10
	s_mov_b32 s13, 0
	s_waitcnt lgkmcnt(0)
	s_ashr_i32 s2, s9, 31
	s_and_b32 s3, s9, 0x7ff
	s_lshr_b32 s2, s2, 21
	s_delay_alu instid0(SALU_CYCLE_1) | instskip(NEXT) | instid1(SALU_CYCLE_1)
	s_add_i32 s2, s9, s2
	s_and_b32 s2, s2, 0xfffff800
	s_cmp_lg_u32 s3, 0
	s_cselect_b32 s3, -1, 0
	s_lshl_b32 s10, s15, 11
	v_cndmask_b32_e64 v1, 0, 1, s3
	s_delay_alu instid0(VALU_DEP_1) | instskip(NEXT) | instid1(VALU_DEP_1)
	v_readfirstlane_b32 s3, v1
	s_lshl_b32 s16, s3, 11
	s_delay_alu instid0(SALU_CYCLE_1) | instskip(NEXT) | instid1(SALU_CYCLE_1)
	s_add_i32 s16, s16, s2
	s_cmp_ge_u32 s10, s16
	s_cbranch_scc1 .LBB95_177
; %bb.1:
	s_clause 0x1
	s_load_b128 s[4:7], s[0:1], 0x0
	s_load_b32 s3, s[0:1], 0x18
	v_lshlrev_b32_e32 v1, 2, v0
	v_mbcnt_lo_u32_b32 v33, -1, 0
	v_and_b32_e32 v2, 0x3e0, v0
	s_movk_i32 s1, 0x7c
	s_cmp_lg_u32 s8, 1
	v_and_b32_e32 v1, 0xf80, v1
	v_lshlrev_b32_e32 v8, 1, v33
	v_or_b32_e32 v12, v33, v2
	v_and_b32_e32 v32, 15, v33
	s_mul_hi_i32 s2, s8, 0x51eb851f
	v_lshlrev_b32_e32 v9, 1, v1
	v_or_b32_e32 v3, v33, v1
	v_lshrrev_b32_e32 v1, 5, v1
	v_lshrrev_b32_e32 v13, 3, v12
	s_cselect_b32 s17, -1, 0
	v_add_nc_u32_e32 v21, 8, v33
	v_or_b32_e32 v6, 0x60, v3
	v_or_b32_e32 v4, 32, v3
	s_waitcnt lgkmcnt(0)
	v_add_co_u32 v8, s0, s4, v8
	s_delay_alu instid0(VALU_DEP_1) | instskip(SKIP_1) | instid1(VALU_DEP_3)
	v_add_co_ci_u32_e64 v10, null, s5, 0, s0
	v_lshrrev_b32_e32 v14, 5, v6
	v_add_co_u32 v8, vcc_lo, v8, v9
	s_delay_alu instid0(VALU_DEP_3)
	v_add_co_ci_u32_e32 v9, vcc_lo, 0, v10, vcc_lo
	v_cmp_ne_u32_e32 vcc_lo, 31, v33
	v_add_lshl_u32 v7, v1, v3, 1
	v_add_lshl_u32 v10, v1, v4, 1
	v_and_b32_e32 v1, 0x7e, v14
	v_lshlrev_b32_e32 v14, 2, v12
	v_add_co_ci_u32_e32 v15, vcc_lo, 0, v33, vcc_lo
	v_cmp_gt_u32_e32 vcc_lo, 30, v33
	s_delay_alu instid0(VALU_DEP_4)
	v_add_lshl_u32 v12, v1, v6, 1
	v_or_b32_e32 v5, 64, v3
	s_lshr_b32 s4, s2, 31
	s_ashr_i32 s2, s2, 5
	v_cndmask_b32_e64 v16, 0, 1, vcc_lo
	v_cmp_gt_u32_e32 vcc_lo, 28, v33
	s_add_i32 s2, s2, s4
	v_lshrrev_b32_e32 v11, 5, v5
	s_mulk_i32 s2, 0x64
	v_lshlrev_b32_e32 v1, 1, v16
	v_cndmask_b32_e64 v16, 0, 1, vcc_lo
	v_cmp_gt_u32_e32 vcc_lo, 24, v33
	v_and_b32_e32 v13, 0x7e, v13
	s_sub_i32 s4, s8, s2
	v_add_lshl_u32 v11, v11, v5, 1
	v_lshlrev_b32_e32 v19, 2, v16
	v_cndmask_b32_e64 v17, 0, 1, vcc_lo
	v_cmp_gt_u32_e32 vcc_lo, 16, v33
	v_add_lshl_u32 v16, v1, v33, 2
	s_ashr_i32 s5, s4, 31
	v_add_lshl_u32 v13, v13, v14, 1
	v_lshlrev_b32_e32 v1, 3, v17
	v_cndmask_b32_e64 v18, 0, 1, vcc_lo
	v_cmp_gt_u32_e32 vcc_lo, 14, v32
	v_lshlrev_b32_e32 v14, 2, v15
	v_add_nc_u32_e32 v15, 1, v33
	v_add_lshl_u32 v20, v1, v33, 2
	v_lshrrev_b32_e32 v1, 3, v0
	v_lshlrev_b32_e32 v22, 4, v18
	v_add_nc_u32_e32 v17, 2, v33
	v_add_lshl_u32 v18, v19, v33, 2
	v_add_nc_u32_e32 v19, 4, v33
	v_and_or_b32 v24, v1, s1, 0x1080
	v_cndmask_b32_e64 v1, 0, 1, vcc_lo
	v_cmp_ne_u32_e32 vcc_lo, 15, v32
	v_add_lshl_u32 v22, v22, v33, 2
	v_add_nc_u32_e32 v23, 16, v33
	v_cmp_eq_u32_e64 s0, 0, v33
	v_lshlrev_b32_e32 v1, 1, v1
	v_add_co_ci_u32_e32 v27, vcc_lo, 0, v33, vcc_lo
	v_cmp_gt_u32_e32 vcc_lo, 12, v32
	v_cmp_gt_u32_e64 s1, 16, v0
	s_delay_alu instid0(VALU_DEP_4)
	v_add_lshl_u32 v29, v1, v33, 2
	v_lshl_or_b32 v25, v33, 2, 0x1080
	v_add_nc_u32_e32 v26, 1, v32
	v_cndmask_b32_e64 v31, 0, 1, vcc_lo
	v_cmp_gt_u32_e32 vcc_lo, 8, v32
	v_lshlrev_b32_e32 v27, 2, v27
	v_add_nc_u32_e32 v28, 2, v32
	v_add_nc_u32_e32 v30, 4, v32
	v_lshlrev_b32_e32 v1, 2, v31
	v_cndmask_b32_e64 v31, 0, 1, vcc_lo
	v_add_nc_u32_e32 v32, 8, v32
	v_cmp_eq_u32_e64 s2, 0, v0
	s_lshl_b64 s[4:5], s[4:5], 2
	s_delay_alu instid0(VALU_DEP_3)
	v_lshlrev_b32_e32 v34, 3, v31
	v_add_lshl_u32 v31, v1, v33, 2
	s_add_u32 s4, s6, s4
	s_addc_u32 s5, s7, s5
	s_lshl_b32 s8, s3, 11
	v_add_lshl_u32 v33, v34, v33, 2
	v_mov_b32_e32 v34, 0
	s_branch .LBB95_3
.LBB95_2:                               ;   in Loop: Header=BB95_3 Depth=1
	s_or_b32 exec_lo, exec_lo, s3
	s_add_i32 s10, s8, s10
	s_delay_alu instid0(SALU_CYCLE_1)
	s_cmp_ge_u32 s10, s16
	s_cbranch_scc1 .LBB95_177
.LBB95_3:                               ; =>This Loop Header: Depth=1
                                        ;     Child Loop BB95_18 Depth 2
                                        ;     Child Loop BB95_21 Depth 2
	;; [unrolled: 1-line block ×3, first 2 shown]
                                        ;       Child Loop BB95_28 Depth 3
                                        ;       Child Loop BB95_31 Depth 3
	;; [unrolled: 1-line block ×50, first 2 shown]
	s_mov_b32 s11, s13
	v_mov_b32_e32 v35, 0
	s_lshl_b64 s[14:15], s[10:11], 1
	s_sub_i32 s3, s9, s10
	v_add_co_u32 v0, vcc_lo, v8, s14
	v_add_co_ci_u32_e32 v1, vcc_lo, s15, v9, vcc_lo
	s_min_u32 s3, s3, 0x800
	s_mov_b32 s11, exec_lo
	s_barrier
	buffer_gl0_inv
	v_cmpx_gt_u32_e64 s3, v3
	s_cbranch_execz .LBB95_5
; %bb.4:                                ;   in Loop: Header=BB95_3 Depth=1
	global_load_u16 v35, v[0:1], off
.LBB95_5:                               ;   in Loop: Header=BB95_3 Depth=1
	s_or_b32 exec_lo, exec_lo, s11
	v_dual_mov_b32 v36, 0 :: v_dual_mov_b32 v37, 0
	s_mov_b32 s11, exec_lo
	v_cmpx_gt_u32_e64 s3, v4
	s_cbranch_execz .LBB95_7
; %bb.6:                                ;   in Loop: Header=BB95_3 Depth=1
	global_load_u16 v37, v[0:1], off offset:64
.LBB95_7:                               ;   in Loop: Header=BB95_3 Depth=1
	s_or_b32 exec_lo, exec_lo, s11
	s_delay_alu instid0(SALU_CYCLE_1)
	s_mov_b32 s11, exec_lo
	v_cmpx_gt_u32_e64 s3, v5
	s_cbranch_execz .LBB95_9
; %bb.8:                                ;   in Loop: Header=BB95_3 Depth=1
	global_load_u16 v36, v[0:1], off offset:128
.LBB95_9:                               ;   in Loop: Header=BB95_3 Depth=1
	s_or_b32 exec_lo, exec_lo, s11
	v_mov_b32_e32 v38, 0
	s_mov_b32 s11, exec_lo
	v_cmpx_gt_u32_e64 s3, v6
	s_cbranch_execz .LBB95_11
; %bb.10:                               ;   in Loop: Header=BB95_3 Depth=1
	global_load_u16 v38, v[0:1], off offset:192
.LBB95_11:                              ;   in Loop: Header=BB95_3 Depth=1
	s_or_b32 exec_lo, exec_lo, s11
	s_waitcnt vmcnt(0)
	ds_store_b16 v7, v35
	ds_store_b16 v10, v37
	;; [unrolled: 1-line block ×4, first 2 shown]
	; wave barrier
	ds_load_b64 v[0:1], v13
	s_waitcnt lgkmcnt(0)
	v_lshrrev_b32_e32 v35, 16, v0
	s_delay_alu instid0(VALU_DEP_1) | instskip(NEXT) | instid1(VALU_DEP_1)
	v_cvt_f32_f16_e32 v35, v35
	v_mul_f32_e32 v35, v35, v35
	s_delay_alu instid0(VALU_DEP_1) | instskip(SKIP_1) | instid1(VALU_DEP_2)
	v_fma_mix_f32 v0, v0, v0, v35 op_sel_hi:[1,1,0]
	v_sub_nc_u32_e64 v35, s3, v2 clamp
	v_fma_mix_f32 v0, v1, v1, v0 op_sel_hi:[1,1,0]
	s_delay_alu instid0(VALU_DEP_2) | instskip(NEXT) | instid1(VALU_DEP_2)
	v_cmp_lt_u32_e32 vcc_lo, v15, v35
	v_fma_mix_f32 v0, v1, v1, v0 op_sel:[1,1,0] op_sel_hi:[1,1,0]
	ds_bpermute_b32 v1, v14, v0
	s_waitcnt lgkmcnt(0)
	v_add_f32_e32 v1, v0, v1
	s_delay_alu instid0(VALU_DEP_1) | instskip(SKIP_4) | instid1(VALU_DEP_1)
	v_cndmask_b32_e32 v0, v0, v1, vcc_lo
	v_cmp_lt_u32_e32 vcc_lo, v17, v35
	ds_bpermute_b32 v1, v16, v0
	s_waitcnt lgkmcnt(0)
	v_add_f32_e32 v1, v0, v1
	v_cndmask_b32_e32 v0, v0, v1, vcc_lo
	v_cmp_lt_u32_e32 vcc_lo, v19, v35
	ds_bpermute_b32 v1, v18, v0
	s_waitcnt lgkmcnt(0)
	v_add_f32_e32 v1, v0, v1
	s_delay_alu instid0(VALU_DEP_1) | instskip(SKIP_4) | instid1(VALU_DEP_1)
	v_cndmask_b32_e32 v0, v0, v1, vcc_lo
	v_cmp_lt_u32_e32 vcc_lo, v21, v35
	ds_bpermute_b32 v1, v20, v0
	s_waitcnt lgkmcnt(0)
	v_add_f32_e32 v1, v0, v1
	v_cndmask_b32_e32 v0, v0, v1, vcc_lo
	v_cmp_lt_u32_e32 vcc_lo, v23, v35
	ds_bpermute_b32 v1, v22, v0
	s_waitcnt lgkmcnt(0)
	v_add_f32_e32 v1, v0, v1
	s_delay_alu instid0(VALU_DEP_1)
	v_cndmask_b32_e32 v35, v0, v1, vcc_lo
	s_and_saveexec_b32 s11, s0
	s_cbranch_execz .LBB95_13
; %bb.12:                               ;   in Loop: Header=BB95_3 Depth=1
	ds_store_b32 v24, v35
.LBB95_13:                              ;   in Loop: Header=BB95_3 Depth=1
	s_or_b32 exec_lo, exec_lo, s11
	s_waitcnt lgkmcnt(0)
	s_barrier
	buffer_gl0_inv
	s_and_saveexec_b32 s11, s1
	s_cbranch_execz .LBB95_15
; %bb.14:                               ;   in Loop: Header=BB95_3 Depth=1
	ds_load_b32 v0, v25
	s_add_i32 s3, s3, 31
	s_delay_alu instid0(SALU_CYCLE_1) | instskip(NEXT) | instid1(SALU_CYCLE_1)
	s_lshr_b32 s12, s3, 5
	v_cmp_gt_u32_e32 vcc_lo, s12, v26
	v_cmp_gt_u32_e64 s3, s12, v28
	s_waitcnt lgkmcnt(0)
	ds_bpermute_b32 v1, v27, v0
	s_waitcnt lgkmcnt(0)
	v_add_f32_e32 v1, v0, v1
	s_delay_alu instid0(VALU_DEP_1) | instskip(SKIP_3) | instid1(VALU_DEP_1)
	v_cndmask_b32_e32 v1, v0, v1, vcc_lo
	ds_bpermute_b32 v35, v29, v1
	s_waitcnt lgkmcnt(0)
	v_add_f32_e32 v35, v1, v35
	v_cndmask_b32_e64 v1, v1, v35, s3
	v_cmp_gt_u32_e64 s3, s12, v30
	ds_bpermute_b32 v35, v31, v1
	s_waitcnt lgkmcnt(0)
	v_add_f32_e32 v35, v1, v35
	s_delay_alu instid0(VALU_DEP_1) | instskip(SKIP_4) | instid1(VALU_DEP_1)
	v_cndmask_b32_e64 v1, v1, v35, s3
	v_cmp_gt_u32_e64 s3, s12, v32
	ds_bpermute_b32 v35, v33, v1
	s_waitcnt lgkmcnt(0)
	v_add_f32_e32 v35, v1, v35
	v_cndmask_b32_e64 v1, v1, v35, s3
	s_delay_alu instid0(VALU_DEP_1)
	v_cndmask_b32_e32 v35, v0, v1, vcc_lo
.LBB95_15:                              ;   in Loop: Header=BB95_3 Depth=1
	s_or_b32 exec_lo, exec_lo, s11
	s_and_saveexec_b32 s3, s2
	s_cbranch_execz .LBB95_2
; %bb.16:                               ;   in Loop: Header=BB95_3 Depth=1
	s_and_b32 vcc_lo, exec_lo, s17
	s_mov_b32 s11, -1
	s_cbranch_vccz .LBB95_24
; %bb.17:                               ;   in Loop: Header=BB95_3 Depth=1
	v_bfrev_b32_e32 v36, 1
	s_mov_b32 s11, exec_lo
.LBB95_18:                              ;   Parent Loop BB95_3 Depth=1
                                        ; =>  This Inner Loop Header: Depth=2
	s_delay_alu instid0(SALU_CYCLE_1) | instskip(NEXT) | instid1(SALU_CYCLE_1)
	s_ctz_i32_b32 s12, s11
	v_readlane_b32 s14, v35, s12
	s_lshl_b32 s12, 1, s12
	s_delay_alu instid0(SALU_CYCLE_1) | instskip(NEXT) | instid1(SALU_CYCLE_1)
	s_and_not1_b32 s11, s11, s12
	s_cmp_lg_u32 s11, 0
	s_delay_alu instid0(VALU_DEP_1)
	v_add_f32_e32 v36, s14, v36
	s_cbranch_scc1 .LBB95_18
; %bb.19:                               ;   in Loop: Header=BB95_3 Depth=1
	v_mbcnt_lo_u32_b32 v0, exec_lo, 0
	s_mov_b32 s11, exec_lo
	s_delay_alu instid0(VALU_DEP_1)
	v_cmpx_eq_u32_e32 0, v0
	s_xor_b32 s11, exec_lo, s11
	s_cbranch_execz .LBB95_23
; %bb.20:                               ;   in Loop: Header=BB95_3 Depth=1
	global_load_b32 v1, v34, s[4:5]
	s_mov_b32 s12, 0
.LBB95_21:                              ;   Parent Loop BB95_3 Depth=1
                                        ; =>  This Inner Loop Header: Depth=2
	s_waitcnt vmcnt(0)
	v_add_f32_e32 v0, v1, v36
	global_atomic_cmpswap_b32 v0, v34, v[0:1], s[4:5] glc
	s_waitcnt vmcnt(0)
	v_cmp_eq_u32_e32 vcc_lo, v0, v1
	v_mov_b32_e32 v1, v0
	s_or_b32 s12, vcc_lo, s12
	s_delay_alu instid0(SALU_CYCLE_1)
	s_and_not1_b32 exec_lo, exec_lo, s12
	s_cbranch_execnz .LBB95_21
; %bb.22:                               ;   in Loop: Header=BB95_3 Depth=1
	s_or_b32 exec_lo, exec_lo, s12
.LBB95_23:                              ;   in Loop: Header=BB95_3 Depth=1
	s_delay_alu instid0(SALU_CYCLE_1)
	s_or_b32 exec_lo, exec_lo, s11
	s_mov_b32 s11, 0
.LBB95_24:                              ;   in Loop: Header=BB95_3 Depth=1
	s_delay_alu instid0(SALU_CYCLE_1)
	s_and_b32 vcc_lo, exec_lo, s11
	s_cbranch_vccz .LBB95_2
; %bb.25:                               ;   in Loop: Header=BB95_3 Depth=1
	s_mov_b32 s12, 0
	s_branch .LBB95_27
.LBB95_26:                              ;   in Loop: Header=BB95_27 Depth=2
	s_or_b32 exec_lo, exec_lo, s11
	s_add_i32 s12, s12, 25
	s_delay_alu instid0(SALU_CYCLE_1)
	s_cmpk_eq_i32 s12, 0x64
	s_cbranch_scc1 .LBB95_2
.LBB95_27:                              ;   Parent Loop BB95_3 Depth=1
                                        ; =>  This Loop Header: Depth=2
                                        ;       Child Loop BB95_28 Depth 3
                                        ;       Child Loop BB95_31 Depth 3
	;; [unrolled: 1-line block ×50, first 2 shown]
	v_bfrev_b32_e32 v36, 1
	s_mov_b32 s11, exec_lo
.LBB95_28:                              ;   Parent Loop BB95_3 Depth=1
                                        ;     Parent Loop BB95_27 Depth=2
                                        ; =>    This Inner Loop Header: Depth=3
	s_delay_alu instid0(SALU_CYCLE_1) | instskip(NEXT) | instid1(SALU_CYCLE_1)
	s_ctz_i32_b32 s14, s11
	v_readlane_b32 s15, v35, s14
	s_lshl_b32 s14, 1, s14
	s_delay_alu instid0(SALU_CYCLE_1) | instskip(NEXT) | instid1(SALU_CYCLE_1)
	s_and_not1_b32 s11, s11, s14
	s_cmp_lg_u32 s11, 0
	s_delay_alu instid0(VALU_DEP_1)
	v_add_f32_e32 v36, s15, v36
	s_cbranch_scc1 .LBB95_28
; %bb.29:                               ;   in Loop: Header=BB95_27 Depth=2
	v_mbcnt_lo_u32_b32 v0, exec_lo, 0
	s_lshl_b64 s[14:15], s[12:13], 2
	s_mov_b32 s11, exec_lo
	s_add_u32 s14, s6, s14
	s_addc_u32 s15, s7, s15
	v_cmpx_eq_u32_e32 0, v0
	s_xor_b32 s11, exec_lo, s11
	s_cbranch_execz .LBB95_33
; %bb.30:                               ;   in Loop: Header=BB95_27 Depth=2
	global_load_b32 v1, v34, s[14:15]
	s_mov_b32 s18, 0
.LBB95_31:                              ;   Parent Loop BB95_3 Depth=1
                                        ;     Parent Loop BB95_27 Depth=2
                                        ; =>    This Inner Loop Header: Depth=3
	s_waitcnt vmcnt(0)
	v_add_f32_e32 v0, v1, v36
	global_atomic_cmpswap_b32 v0, v34, v[0:1], s[14:15] glc
	s_waitcnt vmcnt(0)
	v_cmp_eq_u32_e32 vcc_lo, v0, v1
	v_mov_b32_e32 v1, v0
	s_or_b32 s18, vcc_lo, s18
	s_delay_alu instid0(SALU_CYCLE_1)
	s_and_not1_b32 exec_lo, exec_lo, s18
	s_cbranch_execnz .LBB95_31
; %bb.32:                               ;   in Loop: Header=BB95_27 Depth=2
	s_or_b32 exec_lo, exec_lo, s18
.LBB95_33:                              ;   in Loop: Header=BB95_27 Depth=2
	s_delay_alu instid0(SALU_CYCLE_1)
	s_or_b32 exec_lo, exec_lo, s11
	v_bfrev_b32_e32 v36, 1
	s_mov_b32 s11, exec_lo
.LBB95_34:                              ;   Parent Loop BB95_3 Depth=1
                                        ;     Parent Loop BB95_27 Depth=2
                                        ; =>    This Inner Loop Header: Depth=3
	s_delay_alu instid0(SALU_CYCLE_1) | instskip(NEXT) | instid1(SALU_CYCLE_1)
	s_ctz_i32_b32 s18, s11
	v_readlane_b32 s19, v35, s18
	s_lshl_b32 s18, 1, s18
	s_delay_alu instid0(SALU_CYCLE_1) | instskip(NEXT) | instid1(SALU_CYCLE_1)
	s_and_not1_b32 s11, s11, s18
	s_cmp_lg_u32 s11, 0
	s_delay_alu instid0(VALU_DEP_1)
	v_add_f32_e32 v36, s19, v36
	s_cbranch_scc1 .LBB95_34
; %bb.35:                               ;   in Loop: Header=BB95_27 Depth=2
	v_mbcnt_lo_u32_b32 v0, exec_lo, 0
	s_mov_b32 s11, exec_lo
	s_delay_alu instid0(VALU_DEP_1)
	v_cmpx_eq_u32_e32 0, v0
	s_xor_b32 s11, exec_lo, s11
	s_cbranch_execz .LBB95_39
; %bb.36:                               ;   in Loop: Header=BB95_27 Depth=2
	global_load_b32 v1, v34, s[14:15] offset:4
	s_mov_b32 s18, 0
.LBB95_37:                              ;   Parent Loop BB95_3 Depth=1
                                        ;     Parent Loop BB95_27 Depth=2
                                        ; =>    This Inner Loop Header: Depth=3
	s_waitcnt vmcnt(0)
	v_add_f32_e32 v0, v1, v36
	global_atomic_cmpswap_b32 v0, v34, v[0:1], s[14:15] offset:4 glc
	s_waitcnt vmcnt(0)
	v_cmp_eq_u32_e32 vcc_lo, v0, v1
	v_mov_b32_e32 v1, v0
	s_or_b32 s18, vcc_lo, s18
	s_delay_alu instid0(SALU_CYCLE_1)
	s_and_not1_b32 exec_lo, exec_lo, s18
	s_cbranch_execnz .LBB95_37
; %bb.38:                               ;   in Loop: Header=BB95_27 Depth=2
	s_or_b32 exec_lo, exec_lo, s18
.LBB95_39:                              ;   in Loop: Header=BB95_27 Depth=2
	s_delay_alu instid0(SALU_CYCLE_1)
	s_or_b32 exec_lo, exec_lo, s11
	v_bfrev_b32_e32 v36, 1
	s_mov_b32 s11, exec_lo
.LBB95_40:                              ;   Parent Loop BB95_3 Depth=1
                                        ;     Parent Loop BB95_27 Depth=2
                                        ; =>    This Inner Loop Header: Depth=3
	s_delay_alu instid0(SALU_CYCLE_1) | instskip(NEXT) | instid1(SALU_CYCLE_1)
	s_ctz_i32_b32 s18, s11
	v_readlane_b32 s19, v35, s18
	s_lshl_b32 s18, 1, s18
	s_delay_alu instid0(SALU_CYCLE_1) | instskip(NEXT) | instid1(SALU_CYCLE_1)
	s_and_not1_b32 s11, s11, s18
	s_cmp_lg_u32 s11, 0
	s_delay_alu instid0(VALU_DEP_1)
	v_add_f32_e32 v36, s19, v36
	s_cbranch_scc1 .LBB95_40
; %bb.41:                               ;   in Loop: Header=BB95_27 Depth=2
	v_mbcnt_lo_u32_b32 v0, exec_lo, 0
	s_mov_b32 s11, exec_lo
	s_delay_alu instid0(VALU_DEP_1)
	v_cmpx_eq_u32_e32 0, v0
	s_xor_b32 s11, exec_lo, s11
	s_cbranch_execz .LBB95_45
; %bb.42:                               ;   in Loop: Header=BB95_27 Depth=2
	global_load_b32 v1, v34, s[14:15] offset:8
	s_mov_b32 s18, 0
.LBB95_43:                              ;   Parent Loop BB95_3 Depth=1
                                        ;     Parent Loop BB95_27 Depth=2
                                        ; =>    This Inner Loop Header: Depth=3
	s_waitcnt vmcnt(0)
	v_add_f32_e32 v0, v1, v36
	global_atomic_cmpswap_b32 v0, v34, v[0:1], s[14:15] offset:8 glc
	s_waitcnt vmcnt(0)
	v_cmp_eq_u32_e32 vcc_lo, v0, v1
	v_mov_b32_e32 v1, v0
	s_or_b32 s18, vcc_lo, s18
	s_delay_alu instid0(SALU_CYCLE_1)
	s_and_not1_b32 exec_lo, exec_lo, s18
	s_cbranch_execnz .LBB95_43
; %bb.44:                               ;   in Loop: Header=BB95_27 Depth=2
	s_or_b32 exec_lo, exec_lo, s18
.LBB95_45:                              ;   in Loop: Header=BB95_27 Depth=2
	;; [unrolled: 43-line block ×11, first 2 shown]
	s_delay_alu instid0(SALU_CYCLE_1)
	s_or_b32 exec_lo, exec_lo, s11
	v_bfrev_b32_e32 v36, 1
	s_mov_b32 s11, exec_lo
.LBB95_100:                             ;   Parent Loop BB95_3 Depth=1
                                        ;     Parent Loop BB95_27 Depth=2
                                        ; =>    This Inner Loop Header: Depth=3
	s_delay_alu instid0(SALU_CYCLE_1) | instskip(NEXT) | instid1(SALU_CYCLE_1)
	s_ctz_i32_b32 s18, s11
	v_readlane_b32 s19, v35, s18
	s_lshl_b32 s18, 1, s18
	s_delay_alu instid0(SALU_CYCLE_1) | instskip(NEXT) | instid1(SALU_CYCLE_1)
	s_and_not1_b32 s11, s11, s18
	s_cmp_lg_u32 s11, 0
	s_delay_alu instid0(VALU_DEP_1)
	v_add_f32_e32 v36, s19, v36
	s_cbranch_scc1 .LBB95_100
; %bb.101:                              ;   in Loop: Header=BB95_27 Depth=2
	v_mbcnt_lo_u32_b32 v0, exec_lo, 0
	s_mov_b32 s11, exec_lo
	s_delay_alu instid0(VALU_DEP_1)
	v_cmpx_eq_u32_e32 0, v0
	s_xor_b32 s11, exec_lo, s11
	s_cbranch_execz .LBB95_105
; %bb.102:                              ;   in Loop: Header=BB95_27 Depth=2
	global_load_b32 v1, v34, s[14:15] offset:48
	s_mov_b32 s18, 0
.LBB95_103:                             ;   Parent Loop BB95_3 Depth=1
                                        ;     Parent Loop BB95_27 Depth=2
                                        ; =>    This Inner Loop Header: Depth=3
	s_waitcnt vmcnt(0)
	v_add_f32_e32 v0, v1, v36
	global_atomic_cmpswap_b32 v0, v34, v[0:1], s[14:15] offset:48 glc
	s_waitcnt vmcnt(0)
	v_cmp_eq_u32_e32 vcc_lo, v0, v1
	v_mov_b32_e32 v1, v0
	s_or_b32 s18, vcc_lo, s18
	s_delay_alu instid0(SALU_CYCLE_1)
	s_and_not1_b32 exec_lo, exec_lo, s18
	s_cbranch_execnz .LBB95_103
; %bb.104:                              ;   in Loop: Header=BB95_27 Depth=2
	s_or_b32 exec_lo, exec_lo, s18
.LBB95_105:                             ;   in Loop: Header=BB95_27 Depth=2
	s_delay_alu instid0(SALU_CYCLE_1)
	s_or_b32 exec_lo, exec_lo, s11
	v_bfrev_b32_e32 v36, 1
	s_mov_b32 s11, exec_lo
.LBB95_106:                             ;   Parent Loop BB95_3 Depth=1
                                        ;     Parent Loop BB95_27 Depth=2
                                        ; =>    This Inner Loop Header: Depth=3
	s_delay_alu instid0(SALU_CYCLE_1) | instskip(NEXT) | instid1(SALU_CYCLE_1)
	s_ctz_i32_b32 s18, s11
	v_readlane_b32 s19, v35, s18
	s_lshl_b32 s18, 1, s18
	s_delay_alu instid0(SALU_CYCLE_1) | instskip(NEXT) | instid1(SALU_CYCLE_1)
	s_and_not1_b32 s11, s11, s18
	s_cmp_lg_u32 s11, 0
	s_delay_alu instid0(VALU_DEP_1)
	v_add_f32_e32 v36, s19, v36
	s_cbranch_scc1 .LBB95_106
; %bb.107:                              ;   in Loop: Header=BB95_27 Depth=2
	v_mbcnt_lo_u32_b32 v0, exec_lo, 0
	s_mov_b32 s11, exec_lo
	s_delay_alu instid0(VALU_DEP_1)
	v_cmpx_eq_u32_e32 0, v0
	s_xor_b32 s11, exec_lo, s11
	s_cbranch_execz .LBB95_111
; %bb.108:                              ;   in Loop: Header=BB95_27 Depth=2
	global_load_b32 v1, v34, s[14:15] offset:52
	s_mov_b32 s18, 0
.LBB95_109:                             ;   Parent Loop BB95_3 Depth=1
                                        ;     Parent Loop BB95_27 Depth=2
                                        ; =>    This Inner Loop Header: Depth=3
	s_waitcnt vmcnt(0)
	v_add_f32_e32 v0, v1, v36
	global_atomic_cmpswap_b32 v0, v34, v[0:1], s[14:15] offset:52 glc
	s_waitcnt vmcnt(0)
	v_cmp_eq_u32_e32 vcc_lo, v0, v1
	v_mov_b32_e32 v1, v0
	s_or_b32 s18, vcc_lo, s18
	s_delay_alu instid0(SALU_CYCLE_1)
	s_and_not1_b32 exec_lo, exec_lo, s18
	s_cbranch_execnz .LBB95_109
; %bb.110:                              ;   in Loop: Header=BB95_27 Depth=2
	s_or_b32 exec_lo, exec_lo, s18
.LBB95_111:                             ;   in Loop: Header=BB95_27 Depth=2
	;; [unrolled: 43-line block ×12, first 2 shown]
	s_delay_alu instid0(SALU_CYCLE_1)
	s_or_b32 exec_lo, exec_lo, s11
	v_bfrev_b32_e32 v36, 1
	s_mov_b32 s11, exec_lo
.LBB95_172:                             ;   Parent Loop BB95_3 Depth=1
                                        ;     Parent Loop BB95_27 Depth=2
                                        ; =>    This Inner Loop Header: Depth=3
	s_delay_alu instid0(SALU_CYCLE_1) | instskip(NEXT) | instid1(SALU_CYCLE_1)
	s_ctz_i32_b32 s18, s11
	v_readlane_b32 s19, v35, s18
	s_lshl_b32 s18, 1, s18
	s_delay_alu instid0(SALU_CYCLE_1) | instskip(NEXT) | instid1(SALU_CYCLE_1)
	s_and_not1_b32 s11, s11, s18
	s_cmp_lg_u32 s11, 0
	s_delay_alu instid0(VALU_DEP_1)
	v_add_f32_e32 v36, s19, v36
	s_cbranch_scc1 .LBB95_172
; %bb.173:                              ;   in Loop: Header=BB95_27 Depth=2
	v_mbcnt_lo_u32_b32 v0, exec_lo, 0
	s_mov_b32 s11, exec_lo
	s_delay_alu instid0(VALU_DEP_1)
	v_cmpx_eq_u32_e32 0, v0
	s_xor_b32 s11, exec_lo, s11
	s_cbranch_execz .LBB95_26
; %bb.174:                              ;   in Loop: Header=BB95_27 Depth=2
	global_load_b32 v1, v34, s[14:15] offset:96
	s_mov_b32 s18, 0
.LBB95_175:                             ;   Parent Loop BB95_3 Depth=1
                                        ;     Parent Loop BB95_27 Depth=2
                                        ; =>    This Inner Loop Header: Depth=3
	s_waitcnt vmcnt(0)
	v_add_f32_e32 v0, v1, v36
	global_atomic_cmpswap_b32 v0, v34, v[0:1], s[14:15] offset:96 glc
	s_waitcnt vmcnt(0)
	v_cmp_eq_u32_e32 vcc_lo, v0, v1
	v_mov_b32_e32 v1, v0
	s_or_b32 s18, vcc_lo, s18
	s_delay_alu instid0(SALU_CYCLE_1)
	s_and_not1_b32 exec_lo, exec_lo, s18
	s_cbranch_execnz .LBB95_175
; %bb.176:                              ;   in Loop: Header=BB95_27 Depth=2
	s_or_b32 exec_lo, exec_lo, s18
	s_branch .LBB95_26
.LBB95_177:
	s_endpgm
	.section	.rodata,"a",@progbits
	.p2align	6, 0x0
	.amdhsa_kernel _Z19kPercentileClippingI6__halfLi2048ELi4EEvPT_Pfii
		.amdhsa_group_segment_fixed_size 4288
		.amdhsa_private_segment_fixed_size 0
		.amdhsa_kernarg_size 280
		.amdhsa_user_sgpr_count 15
		.amdhsa_user_sgpr_dispatch_ptr 0
		.amdhsa_user_sgpr_queue_ptr 0
		.amdhsa_user_sgpr_kernarg_segment_ptr 1
		.amdhsa_user_sgpr_dispatch_id 0
		.amdhsa_user_sgpr_private_segment_size 0
		.amdhsa_wavefront_size32 1
		.amdhsa_uses_dynamic_stack 0
		.amdhsa_enable_private_segment 0
		.amdhsa_system_sgpr_workgroup_id_x 1
		.amdhsa_system_sgpr_workgroup_id_y 0
		.amdhsa_system_sgpr_workgroup_id_z 0
		.amdhsa_system_sgpr_workgroup_info 0
		.amdhsa_system_vgpr_workitem_id 0
		.amdhsa_next_free_vgpr 39
		.amdhsa_next_free_sgpr 20
		.amdhsa_reserve_vcc 1
		.amdhsa_float_round_mode_32 0
		.amdhsa_float_round_mode_16_64 0
		.amdhsa_float_denorm_mode_32 3
		.amdhsa_float_denorm_mode_16_64 3
		.amdhsa_dx10_clamp 1
		.amdhsa_ieee_mode 1
		.amdhsa_fp16_overflow 0
		.amdhsa_workgroup_processor_mode 1
		.amdhsa_memory_ordered 1
		.amdhsa_forward_progress 0
		.amdhsa_shared_vgpr_count 0
		.amdhsa_exception_fp_ieee_invalid_op 0
		.amdhsa_exception_fp_denorm_src 0
		.amdhsa_exception_fp_ieee_div_zero 0
		.amdhsa_exception_fp_ieee_overflow 0
		.amdhsa_exception_fp_ieee_underflow 0
		.amdhsa_exception_fp_ieee_inexact 0
		.amdhsa_exception_int_div_zero 0
	.end_amdhsa_kernel
	.section	.text._Z19kPercentileClippingI6__halfLi2048ELi4EEvPT_Pfii,"axG",@progbits,_Z19kPercentileClippingI6__halfLi2048ELi4EEvPT_Pfii,comdat
.Lfunc_end95:
	.size	_Z19kPercentileClippingI6__halfLi2048ELi4EEvPT_Pfii, .Lfunc_end95-_Z19kPercentileClippingI6__halfLi2048ELi4EEvPT_Pfii
                                        ; -- End function
	.section	.AMDGPU.csdata,"",@progbits
; Kernel info:
; codeLenInByte = 5216
; NumSgprs: 22
; NumVgprs: 39
; ScratchSize: 0
; MemoryBound: 0
; FloatMode: 240
; IeeeMode: 1
; LDSByteSize: 4288 bytes/workgroup (compile time only)
; SGPRBlocks: 2
; VGPRBlocks: 4
; NumSGPRsForWavesPerEU: 22
; NumVGPRsForWavesPerEU: 39
; Occupancy: 16
; WaveLimiterHint : 0
; COMPUTE_PGM_RSRC2:SCRATCH_EN: 0
; COMPUTE_PGM_RSRC2:USER_SGPR: 15
; COMPUTE_PGM_RSRC2:TRAP_HANDLER: 0
; COMPUTE_PGM_RSRC2:TGID_X_EN: 1
; COMPUTE_PGM_RSRC2:TGID_Y_EN: 0
; COMPUTE_PGM_RSRC2:TGID_Z_EN: 0
; COMPUTE_PGM_RSRC2:TIDIG_COMP_CNT: 0
	.section	.text._Z18kQuantizeBlockwiseI6__halfLi4096ELi4ELi0ELi0EEvPfPT_S1_PhS1_ii,"axG",@progbits,_Z18kQuantizeBlockwiseI6__halfLi4096ELi4ELi0ELi0EEvPfPT_S1_PhS1_ii,comdat
